;; amdgpu-corpus repo=ROCm/rocFFT kind=compiled arch=gfx1030 opt=O3
	.text
	.amdgcn_target "amdgcn-amd-amdhsa--gfx1030"
	.amdhsa_code_object_version 6
	.protected	fft_rtc_fwd_len216_factors_6_6_6_wgs_324_tpt_36_sp_ip_CI_sbcc_twdbase5_3step ; -- Begin function fft_rtc_fwd_len216_factors_6_6_6_wgs_324_tpt_36_sp_ip_CI_sbcc_twdbase5_3step
	.globl	fft_rtc_fwd_len216_factors_6_6_6_wgs_324_tpt_36_sp_ip_CI_sbcc_twdbase5_3step
	.p2align	8
	.type	fft_rtc_fwd_len216_factors_6_6_6_wgs_324_tpt_36_sp_ip_CI_sbcc_twdbase5_3step,@function
fft_rtc_fwd_len216_factors_6_6_6_wgs_324_tpt_36_sp_ip_CI_sbcc_twdbase5_3step: ; @fft_rtc_fwd_len216_factors_6_6_6_wgs_324_tpt_36_sp_ip_CI_sbcc_twdbase5_3step
; %bb.0:
	s_load_dwordx8 s[8:15], s[4:5], 0x8
	s_mov_b32 s0, exec_lo
	v_cmpx_gt_u32_e32 0x60, v0
	s_cbranch_execz .LBB0_2
; %bb.1:
	v_lshlrev_b32_e32 v3, 3, v0
	s_waitcnt lgkmcnt(0)
	global_load_dwordx2 v[1:2], v3, s[8:9]
	v_add_nc_u32_e32 v3, 0, v3
	s_waitcnt vmcnt(0)
	ds_write_b64 v3, v[1:2] offset:15552
.LBB0_2:
	s_or_b32 exec_lo, exec_lo, s0
	s_waitcnt lgkmcnt(0)
	s_load_dwordx2 s[18:19], s[12:13], 0x8
	s_mov_b64 s[22:23], 0
	s_waitcnt lgkmcnt(0)
	s_add_u32 s0, s18, -1
	s_addc_u32 s1, s19, -1
	s_add_u32 s2, 0, 0x71c4fc00
	s_addc_u32 s3, 0, 0x7c
	s_mul_hi_u32 s8, s2, -9
	s_add_i32 s3, s3, 0x1c71c6a0
	s_sub_i32 s8, s8, s2
	s_mul_i32 s16, s3, -9
	s_mul_i32 s7, s2, -9
	s_add_i32 s8, s8, s16
	s_mul_hi_u32 s9, s2, s7
	s_mul_i32 s20, s2, s8
	s_mul_hi_u32 s16, s2, s8
	s_mul_hi_u32 s17, s3, s7
	s_mul_i32 s7, s3, s7
	s_add_u32 s9, s9, s20
	s_addc_u32 s16, 0, s16
	s_mul_hi_u32 s21, s3, s8
	s_add_u32 s7, s9, s7
	s_mul_i32 s8, s3, s8
	s_addc_u32 s7, s16, s17
	s_addc_u32 s9, s21, 0
	s_add_u32 s7, s7, s8
	v_add_co_u32 v1, s2, s2, s7
	s_addc_u32 s7, 0, s9
	s_cmp_lg_u32 s2, 0
	s_addc_u32 s2, s3, s7
	v_readfirstlane_b32 s3, v1
	s_mul_i32 s8, s0, s2
	s_mul_hi_u32 s7, s0, s2
	s_mul_hi_u32 s9, s1, s2
	s_mul_i32 s2, s1, s2
	s_mul_hi_u32 s16, s0, s3
	s_mul_hi_u32 s17, s1, s3
	s_mul_i32 s3, s1, s3
	s_add_u32 s8, s16, s8
	s_addc_u32 s7, 0, s7
	s_add_u32 s3, s8, s3
	s_addc_u32 s3, s7, s17
	s_addc_u32 s7, s9, 0
	s_add_u32 s2, s3, s2
	s_addc_u32 s3, 0, s7
	s_mul_i32 s8, s2, 9
	s_add_u32 s7, s2, 1
	v_sub_co_u32 v1, s0, s0, s8
	s_mul_hi_u32 s8, s2, 9
	s_addc_u32 s9, s3, 0
	s_mul_i32 s16, s3, 9
	v_sub_co_u32 v2, s17, v1, 9
	s_add_u32 s20, s2, 2
	s_addc_u32 s21, s3, 0
	s_add_i32 s8, s8, s16
	s_cmp_lg_u32 s0, 0
	v_readfirstlane_b32 s0, v2
	s_subb_u32 s1, s1, s8
	s_cmp_lg_u32 s17, 0
	s_subb_u32 s8, s1, 0
	s_cmp_gt_u32 s0, 8
	s_cselect_b32 s0, -1, 0
	s_cmp_eq_u32 s8, 0
	v_readfirstlane_b32 s8, v1
	s_cselect_b32 s0, s0, -1
	s_cmp_lg_u32 s0, 0
	s_cselect_b32 s0, s20, s7
	s_cselect_b32 s9, s21, s9
	s_cmp_gt_u32 s8, 8
	s_cselect_b32 s7, -1, 0
	s_cmp_eq_u32 s1, 0
	s_cselect_b32 s1, s7, -1
	s_mov_b32 s7, 0
	s_cmp_lg_u32 s1, 0
	s_cselect_b32 s0, s0, s2
	s_cselect_b32 s1, s9, s3
	s_add_u32 s20, s0, 1
	s_addc_u32 s21, s1, 0
	v_cmp_lt_u64_e64 s0, s[6:7], s[20:21]
	s_and_b32 vcc_lo, exec_lo, s0
	s_cbranch_vccnz .LBB0_4
; %bb.3:
	v_cvt_f32_u32_e32 v1, s20
	s_sub_i32 s1, 0, s20
	s_mov_b32 s23, s7
	v_rcp_iflag_f32_e32 v1, v1
	v_mul_f32_e32 v1, 0x4f7ffffe, v1
	v_cvt_u32_f32_e32 v1, v1
	v_readfirstlane_b32 s0, v1
	s_mul_i32 s1, s1, s0
	s_mul_hi_u32 s1, s0, s1
	s_add_i32 s0, s0, s1
	s_mul_hi_u32 s0, s6, s0
	s_mul_i32 s1, s0, s20
	s_add_i32 s2, s0, 1
	s_sub_i32 s1, s6, s1
	s_sub_i32 s3, s1, s20
	s_cmp_ge_u32 s1, s20
	s_cselect_b32 s0, s2, s0
	s_cselect_b32 s1, s3, s1
	s_add_i32 s2, s0, 1
	s_cmp_ge_u32 s1, s20
	s_cselect_b32 s22, s2, s0
.LBB0_4:
	s_load_dwordx4 s[0:3], s[14:15], 0x0
	s_clause 0x1
	s_load_dwordx2 s[8:9], s[4:5], 0x58
	s_load_dwordx2 s[16:17], s[4:5], 0x0
	s_mul_i32 s4, s22, s21
	s_mul_hi_u32 s5, s22, s20
	s_mul_i32 s24, s22, s20
	s_add_i32 s5, s5, s4
	s_sub_u32 s34, s6, s24
	s_subb_u32 s4, 0, s5
	s_mul_hi_u32 s33, s34, 9
	s_mul_i32 s4, s4, 9
	v_cmp_lt_u64_e64 s25, s[10:11], 3
	s_mul_i32 s34, s34, 9
	s_add_i32 s33, s33, s4
	s_and_b32 vcc_lo, exec_lo, s25
	s_waitcnt lgkmcnt(0)
	s_mul_i32 s4, s2, s33
	s_mul_hi_u32 s5, s2, s34
	s_mul_i32 s24, s3, s34
	s_add_i32 s4, s5, s4
	s_mul_i32 s35, s2, s34
	s_add_i32 s36, s4, s24
	s_cbranch_vccnz .LBB0_14
; %bb.5:
	s_add_u32 s4, s14, 16
	s_addc_u32 s5, s15, 0
	s_add_u32 s12, s12, 16
	s_addc_u32 s13, s13, 0
	s_mov_b64 s[24:25], 2
	s_mov_b32 s26, 0
.LBB0_6:                                ; =>This Inner Loop Header: Depth=1
	s_load_dwordx2 s[28:29], s[12:13], 0x0
	s_waitcnt lgkmcnt(0)
	s_or_b64 s[30:31], s[22:23], s[28:29]
	s_mov_b32 s27, s31
                                        ; implicit-def: $sgpr30_sgpr31
	s_cmp_lg_u64 s[26:27], 0
	s_mov_b32 s27, -1
	s_cbranch_scc0 .LBB0_8
; %bb.7:                                ;   in Loop: Header=BB0_6 Depth=1
	v_cvt_f32_u32_e32 v1, s28
	v_cvt_f32_u32_e32 v2, s29
	s_sub_u32 s31, 0, s28
	s_subb_u32 s37, 0, s29
	v_fmac_f32_e32 v1, 0x4f800000, v2
	v_rcp_f32_e32 v1, v1
	v_mul_f32_e32 v1, 0x5f7ffffc, v1
	v_mul_f32_e32 v2, 0x2f800000, v1
	v_trunc_f32_e32 v2, v2
	v_fmac_f32_e32 v1, 0xcf800000, v2
	v_cvt_u32_f32_e32 v2, v2
	v_cvt_u32_f32_e32 v1, v1
	v_readfirstlane_b32 s27, v2
	v_readfirstlane_b32 s30, v1
	s_mul_i32 s38, s31, s27
	s_mul_hi_u32 s40, s31, s30
	s_mul_i32 s39, s37, s30
	s_add_i32 s38, s40, s38
	s_mul_i32 s41, s31, s30
	s_add_i32 s38, s38, s39
	s_mul_hi_u32 s40, s30, s41
	s_mul_hi_u32 s42, s27, s41
	s_mul_i32 s39, s27, s41
	s_mul_hi_u32 s41, s30, s38
	s_mul_i32 s30, s30, s38
	s_mul_hi_u32 s43, s27, s38
	s_add_u32 s30, s40, s30
	s_addc_u32 s40, 0, s41
	s_add_u32 s30, s30, s39
	s_mul_i32 s38, s27, s38
	s_addc_u32 s30, s40, s42
	s_addc_u32 s39, s43, 0
	s_add_u32 s30, s30, s38
	s_addc_u32 s38, 0, s39
	v_add_co_u32 v1, s30, v1, s30
	s_cmp_lg_u32 s30, 0
	s_addc_u32 s27, s27, s38
	v_readfirstlane_b32 s30, v1
	s_mul_i32 s38, s31, s27
	s_mul_hi_u32 s39, s31, s30
	s_mul_i32 s37, s37, s30
	s_add_i32 s38, s39, s38
	s_mul_i32 s31, s31, s30
	s_add_i32 s38, s38, s37
	s_mul_hi_u32 s39, s27, s31
	s_mul_i32 s40, s27, s31
	s_mul_hi_u32 s31, s30, s31
	s_mul_hi_u32 s41, s30, s38
	s_mul_i32 s30, s30, s38
	s_mul_hi_u32 s37, s27, s38
	s_add_u32 s30, s31, s30
	s_addc_u32 s31, 0, s41
	s_add_u32 s30, s30, s40
	s_mul_i32 s38, s27, s38
	s_addc_u32 s30, s31, s39
	s_addc_u32 s31, s37, 0
	s_add_u32 s30, s30, s38
	s_addc_u32 s31, 0, s31
	v_add_co_u32 v1, s30, v1, s30
	s_cmp_lg_u32 s30, 0
	s_addc_u32 s27, s27, s31
	v_readfirstlane_b32 s30, v1
	s_mul_i32 s37, s22, s27
	s_mul_hi_u32 s31, s22, s27
	s_mul_hi_u32 s38, s23, s27
	s_mul_i32 s27, s23, s27
	s_mul_hi_u32 s39, s22, s30
	s_mul_hi_u32 s40, s23, s30
	s_mul_i32 s30, s23, s30
	s_add_u32 s37, s39, s37
	s_addc_u32 s31, 0, s31
	s_add_u32 s30, s37, s30
	s_addc_u32 s30, s31, s40
	s_addc_u32 s31, s38, 0
	s_add_u32 s30, s30, s27
	s_addc_u32 s31, 0, s31
	s_mul_hi_u32 s27, s28, s30
	s_mul_i32 s38, s28, s31
	s_mul_i32 s39, s28, s30
	s_add_i32 s27, s27, s38
	v_sub_co_u32 v1, s38, s22, s39
	s_mul_i32 s37, s29, s30
	s_add_i32 s27, s27, s37
	v_sub_co_u32 v2, s39, v1, s28
	s_sub_i32 s37, s23, s27
	s_cmp_lg_u32 s38, 0
	s_subb_u32 s37, s37, s29
	s_cmp_lg_u32 s39, 0
	v_readfirstlane_b32 s39, v2
	s_subb_u32 s37, s37, 0
	s_cmp_ge_u32 s37, s29
	s_cselect_b32 s40, -1, 0
	s_cmp_ge_u32 s39, s28
	s_cselect_b32 s39, -1, 0
	s_cmp_eq_u32 s37, s29
	s_cselect_b32 s37, s39, s40
	s_add_u32 s39, s30, 1
	s_addc_u32 s40, s31, 0
	s_add_u32 s41, s30, 2
	s_addc_u32 s42, s31, 0
	s_cmp_lg_u32 s37, 0
	s_cselect_b32 s37, s41, s39
	s_cselect_b32 s39, s42, s40
	s_cmp_lg_u32 s38, 0
	v_readfirstlane_b32 s38, v1
	s_subb_u32 s27, s23, s27
	s_cmp_ge_u32 s27, s29
	s_cselect_b32 s40, -1, 0
	s_cmp_ge_u32 s38, s28
	s_cselect_b32 s38, -1, 0
	s_cmp_eq_u32 s27, s29
	s_cselect_b32 s27, s38, s40
	s_cmp_lg_u32 s27, 0
	s_mov_b32 s27, 0
	s_cselect_b32 s31, s39, s31
	s_cselect_b32 s30, s37, s30
.LBB0_8:                                ;   in Loop: Header=BB0_6 Depth=1
	s_andn2_b32 vcc_lo, exec_lo, s27
	s_cbranch_vccnz .LBB0_10
; %bb.9:                                ;   in Loop: Header=BB0_6 Depth=1
	v_cvt_f32_u32_e32 v1, s28
	s_sub_i32 s30, 0, s28
	v_rcp_iflag_f32_e32 v1, v1
	v_mul_f32_e32 v1, 0x4f7ffffe, v1
	v_cvt_u32_f32_e32 v1, v1
	v_readfirstlane_b32 s27, v1
	s_mul_i32 s30, s30, s27
	s_mul_hi_u32 s30, s27, s30
	s_add_i32 s27, s27, s30
	s_mul_hi_u32 s27, s22, s27
	s_mul_i32 s30, s27, s28
	s_add_i32 s31, s27, 1
	s_sub_i32 s30, s22, s30
	s_sub_i32 s37, s30, s28
	s_cmp_ge_u32 s30, s28
	s_cselect_b32 s27, s31, s27
	s_cselect_b32 s30, s37, s30
	s_add_i32 s31, s27, 1
	s_cmp_ge_u32 s30, s28
	s_cselect_b32 s30, s31, s27
	s_mov_b32 s31, s26
.LBB0_10:                               ;   in Loop: Header=BB0_6 Depth=1
	s_load_dwordx2 s[38:39], s[4:5], 0x0
	s_mul_i32 s21, s28, s21
	s_mul_hi_u32 s27, s28, s20
	s_mul_i32 s37, s29, s20
	s_mul_i32 s29, s30, s29
	s_mul_hi_u32 s40, s30, s28
	s_mul_i32 s41, s31, s28
	s_add_i32 s21, s27, s21
	s_add_i32 s27, s40, s29
	s_mul_i32 s42, s30, s28
	s_add_i32 s21, s21, s37
	s_add_i32 s27, s27, s41
	s_sub_u32 s22, s22, s42
	s_subb_u32 s23, s23, s27
	s_mul_i32 s20, s28, s20
	s_waitcnt lgkmcnt(0)
	s_mul_i32 s23, s38, s23
	s_mul_hi_u32 s27, s38, s22
	s_add_i32 s23, s27, s23
	s_mul_i32 s27, s39, s22
	s_mul_i32 s22, s38, s22
	s_add_i32 s23, s23, s27
	s_add_u32 s35, s22, s35
	s_addc_u32 s36, s23, s36
	s_add_u32 s24, s24, 1
	s_addc_u32 s25, s25, 0
	s_add_u32 s4, s4, 8
	v_cmp_ge_u64_e64 s22, s[24:25], s[10:11]
	s_addc_u32 s5, s5, 0
	s_add_u32 s12, s12, 8
	s_addc_u32 s13, s13, 0
	s_and_b32 vcc_lo, exec_lo, s22
	s_cbranch_vccnz .LBB0_12
; %bb.11:                               ;   in Loop: Header=BB0_6 Depth=1
	s_mov_b64 s[22:23], s[30:31]
	s_branch .LBB0_6
.LBB0_12:
	v_cmp_lt_u64_e64 s4, s[6:7], s[20:21]
	s_mov_b64 s[22:23], 0
	s_and_b32 vcc_lo, exec_lo, s4
	s_cbranch_vccnz .LBB0_14
; %bb.13:
	v_cvt_f32_u32_e32 v1, s20
	s_sub_i32 s5, 0, s20
	v_rcp_iflag_f32_e32 v1, v1
	v_mul_f32_e32 v1, 0x4f7ffffe, v1
	v_cvt_u32_f32_e32 v1, v1
	v_readfirstlane_b32 s4, v1
	s_mul_i32 s5, s5, s4
	s_mul_hi_u32 s5, s4, s5
	s_add_i32 s4, s4, s5
	s_mul_hi_u32 s4, s6, s4
	s_mul_i32 s5, s4, s20
	s_sub_i32 s5, s6, s5
	s_add_i32 s6, s4, 1
	s_sub_i32 s7, s5, s20
	s_cmp_ge_u32 s5, s20
	s_cselect_b32 s4, s6, s4
	s_cselect_b32 s5, s7, s5
	s_add_i32 s6, s4, 1
	s_cmp_ge_u32 s5, s20
	s_cselect_b32 s22, s6, s4
.LBB0_14:
	s_lshl_b64 s[4:5], s[10:11], 3
	v_mul_hi_u32 v7, 0x1c71c71d, v0
	s_add_u32 s4, s14, s4
	s_addc_u32 s5, s15, s5
	s_load_dwordx2 s[4:5], s[4:5], 0x0
	v_mul_u32_u24_e32 v1, 9, v7
	v_lshlrev_b32_e32 v9, 3, v7
	v_add_nc_u32_e32 v5, 36, v7
	v_add_nc_u32_e32 v6, 0x48, v7
	v_add_nc_u32_e32 v4, 0x6c, v7
	v_sub_nc_u32_e32 v8, v0, v1
	v_mov_b32_e32 v1, 0
	v_add_co_u32 v2, s6, s34, v8
	v_add_co_ci_u32_e64 v3, null, s33, 0, s6
	v_mul_lo_u32 v10, 0x6c0, v8
	s_waitcnt lgkmcnt(0)
	s_mul_i32 s5, s5, s22
	s_mul_hi_u32 s6, s4, s22
	s_mul_i32 s4, s4, s22
	s_add_i32 s6, s6, s5
	s_add_u32 s4, s4, s35
	s_addc_u32 s5, s6, s36
	s_add_u32 s6, s34, 9
	s_addc_u32 s7, s33, 0
	v_cmp_gt_u64_e32 vcc_lo, s[18:19], v[2:3]
	v_cmp_le_u64_e64 s6, s[6:7], s[18:19]
	v_add_nc_u32_e32 v3, 0x90, v7
	v_add_nc_u32_e32 v2, 0xb4, v7
	s_or_b32 s6, s6, vcc_lo
	s_and_saveexec_b32 s7, s6
	s_cbranch_execz .LBB0_16
; %bb.15:
	v_mad_u64_u32 v[11:12], null, s2, v8, 0
	v_mad_u64_u32 v[13:14], null, s0, v7, 0
	;; [unrolled: 1-line block ×3, first 2 shown]
	s_lshl_b64 s[10:11], s[4:5], 3
	v_mad_u64_u32 v[17:18], null, s0, v6, 0
	s_add_u32 s10, s8, s10
	v_mad_u64_u32 v[19:20], null, s3, v8, v[12:13]
	v_mov_b32_e32 v12, v16
	v_mad_u64_u32 v[20:21], null, s1, v7, v[14:15]
	v_mad_u64_u32 v[21:22], null, s0, v4, 0
	v_mad_u64_u32 v[23:24], null, s1, v5, v[12:13]
	v_mov_b32_e32 v12, v19
	s_addc_u32 s11, s9, s11
	v_mov_b32_e32 v14, v20
	v_mad_u64_u32 v[25:26], null, s0, v2, 0
	v_lshlrev_b64 v[11:12], 3, v[11:12]
	v_mov_b32_e32 v19, v22
	v_mov_b32_e32 v16, v23
	v_lshlrev_b64 v[13:14], 3, v[13:14]
	v_mad_u64_u32 v[23:24], null, s0, v3, 0
	v_add_co_u32 v28, vcc_lo, s10, v11
	v_add_co_ci_u32_e32 v29, vcc_lo, s11, v12, vcc_lo
	v_mad_u64_u32 v[11:12], null, s1, v6, v[18:19]
	v_mad_u64_u32 v[19:20], null, s1, v4, v[19:20]
	v_add_co_u32 v12, vcc_lo, v28, v13
	v_lshlrev_b64 v[15:16], 3, v[15:16]
	v_add_co_ci_u32_e32 v13, vcc_lo, v29, v14, vcc_lo
	v_mov_b32_e32 v14, v24
	v_mov_b32_e32 v22, v19
	;; [unrolled: 1-line block ×4, first 2 shown]
	v_mad_u64_u32 v[19:20], null, s1, v3, v[14:15]
	v_add_co_u32 v14, vcc_lo, v28, v15
	v_add_co_ci_u32_e32 v15, vcc_lo, v29, v16, vcc_lo
	v_lshlrev_b64 v[16:17], 3, v[17:18]
	v_mad_u64_u32 v[26:27], null, s1, v2, v[11:12]
	v_mov_b32_e32 v24, v19
	v_lshlrev_b64 v[20:21], 3, v[21:22]
	v_add_co_u32 v16, vcc_lo, v28, v16
	v_lshlrev_b64 v[18:19], 3, v[23:24]
	v_add_co_ci_u32_e32 v17, vcc_lo, v29, v17, vcc_lo
	v_add_co_u32 v20, vcc_lo, v28, v20
	v_lshlrev_b64 v[22:23], 3, v[25:26]
	v_add_co_ci_u32_e32 v21, vcc_lo, v29, v21, vcc_lo
	v_add_co_u32 v18, vcc_lo, v28, v18
	v_add_co_ci_u32_e32 v19, vcc_lo, v29, v19, vcc_lo
	v_add_co_u32 v22, vcc_lo, v28, v22
	v_add_co_ci_u32_e32 v23, vcc_lo, v29, v23, vcc_lo
	s_clause 0x5
	global_load_dwordx2 v[11:12], v[12:13], off
	global_load_dwordx2 v[13:14], v[14:15], off
	;; [unrolled: 1-line block ×6, first 2 shown]
	v_add3_u32 v19, 0, v10, v9
	s_waitcnt vmcnt(4)
	ds_write2_b64 v19, v[11:12], v[13:14] offset1:36
	s_waitcnt vmcnt(2)
	ds_write2_b64 v19, v[15:16], v[20:21] offset0:72 offset1:108
	s_waitcnt vmcnt(0)
	ds_write2_b64 v19, v[17:18], v[22:23] offset0:144 offset1:180
.LBB0_16:
	s_or_b32 exec_lo, exec_lo, s7
	s_add_u32 s7, 0, 0x71c4fc00
	s_addc_u32 s10, 0, 0x7c
	s_mul_hi_u32 s12, s7, -9
	s_add_i32 s10, s10, 0x1c71c6a0
	s_sub_i32 s12, s12, s7
	s_mul_i32 s13, s10, -9
	s_mul_i32 s11, s7, -9
	s_add_i32 s12, s12, s13
	s_mul_hi_u32 s14, s10, s11
	s_mul_i32 s13, s10, s11
	s_mul_i32 s15, s7, s12
	s_mul_hi_u32 s11, s7, s11
	s_mul_hi_u32 s18, s7, s12
	s_add_u32 s11, s11, s15
	v_mul_hi_u32 v16, 0x71c71c8, v0
	s_addc_u32 s15, 0, s18
	s_mul_hi_u32 s18, s10, s12
	s_add_u32 s11, s11, s13
	s_addc_u32 s11, s15, s14
	s_mul_i32 s12, s10, s12
	s_addc_u32 s13, s18, 0
	s_add_u32 s11, s11, s12
	s_waitcnt lgkmcnt(0)
	v_add_co_u32 v14, s7, s7, s11
	s_addc_u32 s11, 0, s13
	s_cmp_lg_u32 s7, 0
	v_add_co_u32 v13, s7, s34, v16
	s_addc_u32 s10, s10, s11
	v_add_co_ci_u32_e64 v17, null, s33, 0, s7
	v_mad_u64_u32 v[11:12], null, v13, s10, 0
	v_mul_hi_u32 v18, v13, v14
	v_mad_u64_u32 v[14:15], null, v17, v14, 0
	v_mul_u32_u24_e32 v16, 36, v16
	s_barrier
	buffer_gl0_inv
	v_mov_b32_e32 v26, 5
	s_add_i32 s7, 0, 0x3cc0
	v_add_co_u32 v18, vcc_lo, v18, v11
	v_add_co_ci_u32_e32 v19, vcc_lo, 0, v12, vcc_lo
	v_mad_u64_u32 v[11:12], null, v17, s10, 0
	v_add_co_u32 v14, vcc_lo, v18, v14
	v_add_co_ci_u32_e32 v14, vcc_lo, v19, v15, vcc_lo
	v_sub_nc_u32_e32 v36, v0, v16
	v_add_co_ci_u32_e32 v12, vcc_lo, 0, v12, vcc_lo
	v_add_co_u32 v11, vcc_lo, v14, v11
	v_add_co_ci_u32_e32 v14, vcc_lo, 0, v12, vcc_lo
	v_mad_u64_u32 v[11:12], null, v11, 9, 0
	v_mad_u64_u32 v[14:15], null, v14, 9, v[12:13]
	v_sub_co_u32 v11, vcc_lo, v13, v11
	v_sub_co_ci_u32_e32 v12, vcc_lo, v17, v14, vcc_lo
	v_sub_co_u32 v14, vcc_lo, v11, 9
	v_subrev_co_ci_u32_e32 v15, vcc_lo, 0, v12, vcc_lo
	v_cmp_lt_u32_e32 vcc_lo, 8, v14
	v_cndmask_b32_e64 v17, 0, -1, vcc_lo
	v_cmp_lt_u32_e32 vcc_lo, 8, v11
	v_cndmask_b32_e64 v18, 0, -1, vcc_lo
	v_cmp_eq_u32_e32 vcc_lo, 0, v15
	v_cndmask_b32_e32 v15, -1, v17, vcc_lo
	v_cmp_eq_u32_e32 vcc_lo, 0, v12
	v_add_nc_u32_e32 v17, -9, v14
	v_cndmask_b32_e32 v12, -1, v18, vcc_lo
	v_cmp_ne_u32_e32 vcc_lo, 0, v15
	v_cndmask_b32_e32 v14, v14, v17, vcc_lo
	v_cmp_ne_u32_e32 vcc_lo, 0, v12
	v_lshlrev_b32_e32 v12, 3, v36
	v_cndmask_b32_e32 v0, v11, v14, vcc_lo
	v_and_b32_e32 v11, 0xff, v36
	v_mul_u32_u24_e32 v0, 0xd8, v0
	v_mul_lo_u16 v11, 0xab, v11
	v_lshlrev_b32_e32 v34, 3, v0
	v_lshrrev_b16 v32, 10, v11
	v_add3_u32 v11, 0, v12, v34
	v_add3_u32 v12, 0, v34, v12
	ds_read2_b64 v[14:17], v11 offset0:36 offset1:72
	ds_read_b64 v[22:23], v12
	ds_read2_b64 v[18:21], v11 offset0:108 offset1:144
	ds_read_b64 v[24:25], v11 offset:1440
	v_mul_lo_u16 v0, v32, 6
	s_waitcnt lgkmcnt(0)
	s_barrier
	buffer_gl0_inv
	v_sub_nc_u16 v35, v36, v0
	v_mul_u32_u24_sdwa v0, v35, v26 dst_sel:DWORD dst_unused:UNUSED_PAD src0_sel:BYTE_0 src1_sel:DWORD
	v_mad_i32_i24 v26, v36, 40, v11
	v_lshlrev_b32_e32 v0, 3, v0
	v_add_f32_e32 v30, v23, v17
	v_add_f32_e32 v28, v16, v20
	v_sub_f32_e32 v29, v17, v21
	v_add_f32_e32 v17, v17, v21
	v_add_f32_e32 v31, v14, v18
	;; [unrolled: 1-line block ×3, first 2 shown]
	v_sub_f32_e32 v37, v19, v25
	v_add_f32_e32 v38, v15, v19
	v_add_f32_e32 v19, v19, v25
	;; [unrolled: 1-line block ×3, first 2 shown]
	v_sub_f32_e32 v18, v18, v24
	v_fma_f32 v22, -0.5, v28, v22
	v_fmac_f32_e32 v23, -0.5, v17
	v_add_f32_e32 v17, v31, v24
	v_fma_f32 v24, -0.5, v33, v14
	v_fma_f32 v19, -0.5, v19, v15
	v_sub_f32_e32 v16, v16, v20
	v_add_f32_e32 v20, v27, v20
	v_add_f32_e32 v21, v30, v21
	v_fmamk_f32 v27, v29, 0x3f5db3d7, v22
	v_fmac_f32_e32 v22, 0xbf5db3d7, v29
	v_fmamk_f32 v29, v37, 0x3f5db3d7, v24
	v_fmamk_f32 v30, v18, 0xbf5db3d7, v19
	v_fmac_f32_e32 v24, 0xbf5db3d7, v37
	v_fmac_f32_e32 v19, 0x3f5db3d7, v18
	v_add_f32_e32 v25, v38, v25
	v_mul_f32_e32 v37, 0xbf5db3d7, v29
	v_mul_f32_e32 v31, 0x3f5db3d7, v30
	v_mul_f32_e32 v33, -0.5, v24
	v_mul_f32_e32 v38, -0.5, v19
	v_fmamk_f32 v28, v16, 0xbf5db3d7, v23
	v_fmac_f32_e32 v37, 0.5, v30
	v_fmac_f32_e32 v31, 0.5, v29
	v_fmac_f32_e32 v23, 0x3f5db3d7, v16
	v_fmac_f32_e32 v33, 0x3f5db3d7, v19
	;; [unrolled: 1-line block ×3, first 2 shown]
	v_add_f32_e32 v14, v20, v17
	v_add_f32_e32 v15, v21, v25
	;; [unrolled: 1-line block ×4, first 2 shown]
	v_sub_f32_e32 v16, v20, v17
	v_sub_f32_e32 v17, v21, v25
	v_add_f32_e32 v20, v22, v33
	v_add_f32_e32 v21, v23, v38
	v_sub_f32_e32 v24, v27, v31
	v_sub_f32_e32 v22, v22, v33
	;; [unrolled: 1-line block ×4, first 2 shown]
	ds_write2_b64 v26, v[14:15], v[18:19] offset1:1
	ds_write2_b64 v26, v[20:21], v[16:17] offset0:2 offset1:3
	ds_write2_b64 v26, v[24:25], v[22:23] offset0:4 offset1:5
	s_waitcnt lgkmcnt(0)
	s_barrier
	buffer_gl0_inv
	s_clause 0x2
	global_load_dwordx4 v[14:17], v0, s[16:17]
	global_load_dwordx4 v[18:21], v0, s[16:17] offset:16
	global_load_dwordx2 v[30:31], v0, s[16:17] offset:32
	ds_read2_b64 v[22:25], v11 offset0:36 offset1:72
	ds_read2_b64 v[26:29], v11 offset0:108 offset1:144
	v_and_b32_e32 v38, 0xffff, v32
	ds_read_b64 v[32:33], v11 offset:1440
	v_mov_b32_e32 v37, 3
	v_mul_i32_i24_e32 v0, 5, v36
	v_mad_u32_u24 v38, 0x120, v38, 0
	v_lshlrev_b32_sdwa v35, v37, v35 dst_sel:DWORD dst_unused:UNUSED_PAD src0_sel:DWORD src1_sel:BYTE_0
	v_lshlrev_b64 v[0:1], 3, v[0:1]
	v_add3_u32 v37, v38, v35, v34
	ds_read_b64 v[34:35], v12
	v_add_co_u32 v0, vcc_lo, s16, v0
	v_add_co_ci_u32_e32 v1, vcc_lo, s17, v1, vcc_lo
	s_waitcnt vmcnt(0) lgkmcnt(0)
	s_barrier
	buffer_gl0_inv
	v_mul_f32_e32 v38, v15, v23
	v_mul_f32_e32 v39, v15, v22
	;; [unrolled: 1-line block ×10, first 2 shown]
	v_fma_f32 v22, v14, v22, -v38
	v_fmac_f32_e32 v39, v14, v23
	v_fma_f32 v14, v16, v24, -v15
	v_fma_f32 v15, v18, v26, -v40
	v_fmac_f32_e32 v19, v18, v27
	v_fma_f32 v18, v30, v32, -v42
	v_fmac_f32_e32 v31, v30, v33
	v_fmac_f32_e32 v17, v16, v25
	v_fma_f32 v16, v20, v28, -v41
	v_fmac_f32_e32 v21, v20, v29
	v_add_f32_e32 v27, v15, v18
	v_sub_f32_e32 v28, v19, v31
	v_add_f32_e32 v29, v39, v19
	v_add_f32_e32 v19, v19, v31
	v_add_f32_e32 v20, v34, v14
	v_add_f32_e32 v23, v14, v16
	v_add_f32_e32 v25, v35, v17
	v_add_f32_e32 v26, v22, v15
	v_sub_f32_e32 v15, v15, v18
	v_fmac_f32_e32 v22, -0.5, v27
	v_fmac_f32_e32 v39, -0.5, v19
	v_sub_f32_e32 v24, v17, v21
	v_add_f32_e32 v17, v17, v21
	v_sub_f32_e32 v14, v14, v16
	v_add_f32_e32 v16, v20, v16
	v_fma_f32 v23, -0.5, v23, v34
	v_add_f32_e32 v20, v25, v21
	v_fmamk_f32 v19, v28, 0x3f5db3d7, v22
	v_fmamk_f32 v21, v15, 0xbf5db3d7, v39
	v_fmac_f32_e32 v22, 0xbf5db3d7, v28
	v_fmac_f32_e32 v39, 0x3f5db3d7, v15
	v_fmac_f32_e32 v35, -0.5, v17
	v_fmamk_f32 v25, v24, 0x3f5db3d7, v23
	v_fmac_f32_e32 v23, 0xbf5db3d7, v24
	v_mul_f32_e32 v24, 0x3f5db3d7, v21
	v_mul_f32_e32 v28, 0xbf5db3d7, v19
	v_add_f32_e32 v17, v26, v18
	v_add_f32_e32 v18, v29, v31
	v_mul_f32_e32 v27, -0.5, v22
	v_mul_f32_e32 v29, -0.5, v39
	v_fmamk_f32 v26, v14, 0xbf5db3d7, v35
	v_fmac_f32_e32 v24, 0.5, v19
	v_fmac_f32_e32 v28, 0.5, v21
	v_fmac_f32_e32 v35, 0x3f5db3d7, v14
	v_fmac_f32_e32 v27, 0x3f5db3d7, v39
	;; [unrolled: 1-line block ×3, first 2 shown]
	v_add_f32_e32 v14, v16, v17
	v_add_f32_e32 v15, v20, v18
	v_sub_f32_e32 v16, v16, v17
	v_sub_f32_e32 v17, v20, v18
	v_add_f32_e32 v18, v25, v24
	v_add_f32_e32 v19, v26, v28
	;; [unrolled: 1-line block ×4, first 2 shown]
	v_sub_f32_e32 v22, v25, v24
	v_sub_f32_e32 v24, v23, v27
	;; [unrolled: 1-line block ×4, first 2 shown]
	ds_write2_b64 v37, v[14:15], v[18:19] offset1:6
	ds_write2_b64 v37, v[20:21], v[16:17] offset0:12 offset1:18
	ds_write2_b64 v37, v[22:23], v[24:25] offset0:24 offset1:30
	s_waitcnt lgkmcnt(0)
	s_barrier
	buffer_gl0_inv
	s_clause 0x2
	global_load_dwordx4 v[14:17], v[0:1], off offset:240
	global_load_dwordx4 v[18:21], v[0:1], off offset:256
	global_load_dwordx2 v[0:1], v[0:1], off offset:272
	v_mul_lo_u32 v22, v36, v13
	v_mul_lo_u32 v13, v13, 36
	v_and_b32_e32 v23, 31, v22
	v_lshrrev_b32_e32 v24, 2, v22
	v_lshrrev_b32_e32 v25, 7, v22
	v_add_nc_u32_e32 v22, v22, v13
	v_lshl_add_u32 v23, v23, 3, 0
	v_and_b32_e32 v24, 0xf8, v24
	v_and_b32_e32 v25, 0xf8, v25
	v_and_b32_e32 v26, 31, v22
	v_lshrrev_b32_e32 v27, 2, v22
	v_lshrrev_b32_e32 v28, 7, v22
	v_add_nc_u32_e32 v22, v22, v13
	v_add_nc_u32_e32 v29, s7, v25
	v_lshl_add_u32 v25, v26, 3, 0
	v_and_b32_e32 v26, 0xf8, v27
	v_and_b32_e32 v27, 0xf8, v28
	v_and_b32_e32 v28, 31, v22
	v_lshrrev_b32_e32 v30, 2, v22
	v_lshrrev_b32_e32 v31, 7, v22
	v_add_nc_u32_e32 v22, v22, v13
	;; [unrolled: 8-line block ×4, first 2 shown]
	v_add_nc_u32_e32 v52, s7, v30
	v_add_nc_u32_e32 v54, s7, v31
	v_lshl_add_u32 v42, v32, 3, 0
	v_and_b32_e32 v22, 0xf8, v33
	v_and_b32_e32 v30, 0xf8, v34
	v_lshrrev_b32_e32 v31, 2, v13
	v_lshrrev_b32_e32 v32, 7, v13
	v_add_nc_u32_e32 v24, s7, v24
	v_add_nc_u32_e32 v26, s7, v26
	;; [unrolled: 1-line block ×4, first 2 shown]
	v_and_b32_e32 v22, 0xf8, v31
	v_and_b32_e32 v38, 0xf8, v32
	ds_read_b64 v[30:31], v23 offset:15552
	ds_read_b64 v[32:33], v24 offset:256
	;; [unrolled: 1-line block ×4, first 2 shown]
	v_add_nc_u32_e32 v28, s7, v28
	v_and_b32_e32 v13, 31, v13
	v_add_nc_u32_e32 v62, s7, v22
	v_add_nc_u32_e32 v64, s7, v38
	v_lshl_add_u32 v13, v13, 3, 0
	ds_read_b64 v[38:39], v28 offset:256
	ds_read2_b64 v[22:25], v11 offset0:36 offset1:72
	ds_read_b64 v[40:41], v29 offset:512
	ds_read_b64 v[42:43], v42 offset:15552
	;; [unrolled: 1-line block ×4, first 2 shown]
	ds_read2_b64 v[26:29], v11 offset0:108 offset1:144
	ds_read_b64 v[48:49], v48 offset:512
	ds_read_b64 v[50:51], v50 offset:15552
	;; [unrolled: 1-line block ×9, first 2 shown]
	s_waitcnt lgkmcnt(18)
	v_mul_f32_e32 v13, v31, v33
	v_mul_f32_e32 v33, v30, v33
	s_waitcnt lgkmcnt(16)
	v_mul_f32_e32 v66, v35, v37
	v_mul_f32_e32 v37, v34, v37
	v_fma_f32 v67, v30, v32, -v13
	v_fmac_f32_e32 v33, v31, v32
	ds_read_b64 v[12:13], v12
	ds_read_b64 v[30:31], v11 offset:1440
	s_waitcnt lgkmcnt(12)
	v_mul_f32_e32 v32, v47, v39
	v_fmac_f32_e32 v37, v35, v36
	v_mul_f32_e32 v35, v46, v39
	v_fma_f32 v34, v34, v36, -v66
	s_waitcnt lgkmcnt(8)
	v_mul_f32_e32 v36, v51, v53
	v_mul_f32_e32 v39, v50, v53
	;; [unrolled: 1-line block ×3, first 2 shown]
	v_fma_f32 v32, v46, v38, -v32
	v_fmac_f32_e32 v35, v47, v38
	v_mul_f32_e32 v38, v42, v45
	v_fma_f32 v36, v50, v52, -v36
	v_fmac_f32_e32 v39, v51, v52
	v_fma_f32 v42, v42, v44, -v53
	s_waitcnt lgkmcnt(3)
	v_mul_f32_e32 v45, v59, v63
	v_fmac_f32_e32 v38, v43, v44
	v_mul_f32_e32 v44, v33, v41
	v_mul_f32_e32 v41, v67, v41
	;; [unrolled: 1-line block ×8, first 2 shown]
	v_fma_f32 v43, v58, v62, -v45
	v_mul_f32_e32 v45, v37, v49
	v_mul_f32_e32 v49, v35, v57
	v_fma_f32 v44, v40, v67, -v44
	v_fmac_f32_e32 v41, v40, v33
	v_fmac_f32_e32 v47, v48, v37
	;; [unrolled: 1-line block ×4, first 2 shown]
	v_fma_f32 v35, v60, v42, -v53
	v_fmac_f32_e32 v55, v60, v38
	v_mul_f32_e32 v46, v58, v63
	v_fma_f32 v33, v48, v34, -v45
	v_fma_f32 v34, v54, v36, -v51
	s_waitcnt lgkmcnt(2)
	v_mul_f32_e32 v58, v43, v65
	v_fma_f32 v32, v56, v32, -v49
	v_fmac_f32_e32 v46, v59, v62
	s_waitcnt vmcnt(0) lgkmcnt(0)
	s_barrier
	buffer_gl0_inv
	v_mul_f32_e32 v57, v46, v65
	v_fmac_f32_e32 v58, v64, v46
	v_fma_f32 v36, v64, v43, -v57
	v_mul_f32_e32 v37, v15, v23
	v_mul_f32_e32 v38, v15, v22
	;; [unrolled: 1-line block ×10, first 2 shown]
	v_fma_f32 v22, v14, v22, -v37
	v_fmac_f32_e32 v38, v14, v23
	v_fma_f32 v14, v16, v24, -v15
	v_fmac_f32_e32 v17, v16, v25
	;; [unrolled: 2-line block ×3, first 2 shown]
	v_fmac_f32_e32 v21, v20, v29
	v_fma_f32 v18, v0, v30, -v42
	v_fmac_f32_e32 v1, v0, v31
	v_fma_f32 v16, v20, v28, -v40
	v_add_f32_e32 v24, v13, v17
	v_sub_f32_e32 v23, v17, v21
	v_add_f32_e32 v17, v17, v21
	v_add_f32_e32 v26, v15, v18
	v_sub_f32_e32 v27, v19, v1
	v_add_f32_e32 v28, v38, v19
	v_add_f32_e32 v19, v19, v1
	;; [unrolled: 1-line block ×4, first 2 shown]
	v_sub_f32_e32 v14, v14, v16
	v_add_f32_e32 v25, v22, v15
	v_sub_f32_e32 v15, v15, v18
	v_fmac_f32_e32 v13, -0.5, v17
	v_fmac_f32_e32 v22, -0.5, v26
	;; [unrolled: 1-line block ×3, first 2 shown]
	v_add_f32_e32 v0, v0, v16
	v_fma_f32 v12, -0.5, v20, v12
	v_add_f32_e32 v17, v25, v18
	v_fmamk_f32 v19, v14, 0xbf5db3d7, v13
	v_fmac_f32_e32 v13, 0x3f5db3d7, v14
	v_fmamk_f32 v14, v27, 0x3f5db3d7, v22
	v_fmamk_f32 v20, v15, 0xbf5db3d7, v38
	v_fmac_f32_e32 v22, 0xbf5db3d7, v27
	v_fmac_f32_e32 v38, 0x3f5db3d7, v15
	v_add_f32_e32 v16, v24, v21
	v_add_f32_e32 v1, v28, v1
	;; [unrolled: 1-line block ×3, first 2 shown]
	v_sub_f32_e32 v17, v0, v17
	v_mul_f32_e32 v24, 0x3f5db3d7, v20
	v_mul_f32_e32 v26, 0xbf5db3d7, v14
	v_mul_f32_e32 v25, -0.5, v22
	v_mul_f32_e32 v27, -0.5, v38
	v_fmamk_f32 v18, v23, 0x3f5db3d7, v12
	v_fmac_f32_e32 v12, 0xbf5db3d7, v23
	v_add_f32_e32 v23, v16, v1
	v_sub_f32_e32 v16, v16, v1
	v_mul_f32_e32 v15, v17, v52
	v_fmac_f32_e32 v24, 0.5, v14
	v_fmac_f32_e32 v26, 0.5, v20
	v_mul_f32_e32 v1, v21, v41
	v_fmac_f32_e32 v25, 0x3f5db3d7, v38
	v_fmac_f32_e32 v27, 0xbf5db3d7, v22
	v_mul_f32_e32 v28, v16, v52
	v_fmac_f32_e32 v15, v16, v34
	v_add_f32_e32 v16, v18, v24
	v_add_f32_e32 v22, v19, v26
	v_mul_f32_e32 v0, v23, v41
	v_fmac_f32_e32 v1, v23, v44
	v_add_f32_e32 v20, v12, v25
	v_add_f32_e32 v23, v13, v27
	v_sub_f32_e32 v18, v18, v24
	v_sub_f32_e32 v24, v12, v25
	;; [unrolled: 1-line block ×4, first 2 shown]
	v_mul_f32_e32 v12, v22, v47
	v_mul_f32_e32 v13, v16, v47
	v_fma_f32 v14, v17, v34, -v28
	v_mul_f32_e32 v27, v23, v50
	v_mul_f32_e32 v17, v20, v50
	v_fma_f32 v0, v21, v44, -v0
	v_mul_f32_e32 v28, v25, v55
	v_mul_f32_e32 v19, v18, v55
	v_mul_f32_e32 v29, v26, v58
	v_mul_f32_e32 v21, v24, v58
	v_fma_f32 v12, v16, v33, -v12
	v_fmac_f32_e32 v13, v22, v33
	v_fma_f32 v16, v20, v32, -v27
	v_fmac_f32_e32 v17, v23, v32
	;; [unrolled: 2-line block ×4, first 2 shown]
	ds_write2_b64 v11, v[0:1], v[12:13] offset1:36
	ds_write2_b64 v11, v[16:17], v[14:15] offset0:72 offset1:108
	ds_write2_b64 v11, v[18:19], v[20:21] offset0:144 offset1:180
	s_waitcnt lgkmcnt(0)
	s_barrier
	buffer_gl0_inv
	s_and_saveexec_b32 s7, s6
	s_cbranch_execz .LBB0_18
; %bb.17:
	v_mad_u64_u32 v[0:1], null, s2, v8, 0
	v_mad_u64_u32 v[11:12], null, s0, v7, 0
	v_add3_u32 v25, 0, v10, v9
	v_mad_u64_u32 v[15:16], null, s0, v6, 0
	v_mad_u64_u32 v[17:18], null, s0, v4, 0
	;; [unrolled: 1-line block ×3, first 2 shown]
	v_mov_b32_e32 v9, v12
	v_mad_u64_u32 v[12:13], null, s3, v8, v[1:2]
	v_mad_u64_u32 v[13:14], null, s0, v5, 0
	;; [unrolled: 1-line block ×3, first 2 shown]
	s_lshl_b64 s[2:3], s[4:5], 3
	v_mad_u64_u32 v[21:22], null, s0, v2, 0
	v_mov_b32_e32 v1, v12
	s_add_u32 s2, s8, s2
	s_addc_u32 s3, s9, s3
	v_mov_b32_e32 v12, v7
	ds_read2_b64 v[7:10], v25 offset1:36
	v_lshlrev_b64 v[0:1], 3, v[0:1]
	v_lshlrev_b64 v[11:12], 3, v[11:12]
	v_add_co_u32 v26, vcc_lo, s2, v0
	v_add_co_ci_u32_e32 v27, vcc_lo, s3, v1, vcc_lo
	v_mad_u64_u32 v[0:1], null, s1, v5, v[14:15]
	v_mov_b32_e32 v1, v18
	v_add_co_u32 v11, vcc_lo, v26, v11
	v_add_co_ci_u32_e32 v12, vcc_lo, v27, v12, vcc_lo
	v_mad_u64_u32 v[5:6], null, s1, v6, v[16:17]
	v_mov_b32_e32 v14, v0
	v_mad_u64_u32 v[0:1], null, s1, v4, v[1:2]
	v_mov_b32_e32 v1, v20
	s_waitcnt lgkmcnt(0)
	global_store_dwordx2 v[11:12], v[7:8], off
	v_lshlrev_b64 v[6:7], 3, v[13:14]
	v_mov_b32_e32 v16, v5
	ds_read2_b64 v[11:14], v25 offset0:144 offset1:180
	v_mov_b32_e32 v18, v0
	v_mad_u64_u32 v[0:1], null, s1, v3, v[1:2]
	v_mov_b32_e32 v1, v22
	v_add_co_u32 v23, vcc_lo, v26, v6
	v_add_co_ci_u32_e32 v24, vcc_lo, v27, v7, vcc_lo
	v_mad_u64_u32 v[1:2], null, s1, v2, v[1:2]
	v_lshlrev_b64 v[7:8], 3, v[15:16]
	ds_read2_b64 v[3:6], v25 offset0:72 offset1:108
	v_lshlrev_b64 v[15:16], 3, v[17:18]
	v_mov_b32_e32 v20, v0
	v_add_co_u32 v7, vcc_lo, v26, v7
	v_mov_b32_e32 v22, v1
	v_add_co_ci_u32_e32 v8, vcc_lo, v27, v8, vcc_lo
	v_lshlrev_b64 v[17:18], 3, v[19:20]
	v_add_co_u32 v0, vcc_lo, v26, v15
	v_add_co_ci_u32_e32 v1, vcc_lo, v27, v16, vcc_lo
	v_lshlrev_b64 v[15:16], 3, v[21:22]
	v_add_co_u32 v17, vcc_lo, v26, v17
	v_add_co_ci_u32_e32 v18, vcc_lo, v27, v18, vcc_lo
	v_add_co_u32 v15, vcc_lo, v26, v15
	v_add_co_ci_u32_e32 v16, vcc_lo, v27, v16, vcc_lo
	global_store_dwordx2 v[23:24], v[9:10], off
	s_waitcnt lgkmcnt(0)
	global_store_dwordx2 v[7:8], v[3:4], off
	global_store_dwordx2 v[0:1], v[5:6], off
	;; [unrolled: 1-line block ×4, first 2 shown]
.LBB0_18:
	s_endpgm
	.section	.rodata,"a",@progbits
	.p2align	6, 0x0
	.amdhsa_kernel fft_rtc_fwd_len216_factors_6_6_6_wgs_324_tpt_36_sp_ip_CI_sbcc_twdbase5_3step
		.amdhsa_group_segment_fixed_size 0
		.amdhsa_private_segment_fixed_size 0
		.amdhsa_kernarg_size 96
		.amdhsa_user_sgpr_count 6
		.amdhsa_user_sgpr_private_segment_buffer 1
		.amdhsa_user_sgpr_dispatch_ptr 0
		.amdhsa_user_sgpr_queue_ptr 0
		.amdhsa_user_sgpr_kernarg_segment_ptr 1
		.amdhsa_user_sgpr_dispatch_id 0
		.amdhsa_user_sgpr_flat_scratch_init 0
		.amdhsa_user_sgpr_private_segment_size 0
		.amdhsa_wavefront_size32 1
		.amdhsa_uses_dynamic_stack 0
		.amdhsa_system_sgpr_private_segment_wavefront_offset 0
		.amdhsa_system_sgpr_workgroup_id_x 1
		.amdhsa_system_sgpr_workgroup_id_y 0
		.amdhsa_system_sgpr_workgroup_id_z 0
		.amdhsa_system_sgpr_workgroup_info 0
		.amdhsa_system_vgpr_workitem_id 0
		.amdhsa_next_free_vgpr 68
		.amdhsa_next_free_sgpr 44
		.amdhsa_reserve_vcc 1
		.amdhsa_reserve_flat_scratch 0
		.amdhsa_float_round_mode_32 0
		.amdhsa_float_round_mode_16_64 0
		.amdhsa_float_denorm_mode_32 3
		.amdhsa_float_denorm_mode_16_64 3
		.amdhsa_dx10_clamp 1
		.amdhsa_ieee_mode 1
		.amdhsa_fp16_overflow 0
		.amdhsa_workgroup_processor_mode 1
		.amdhsa_memory_ordered 1
		.amdhsa_forward_progress 0
		.amdhsa_shared_vgpr_count 0
		.amdhsa_exception_fp_ieee_invalid_op 0
		.amdhsa_exception_fp_denorm_src 0
		.amdhsa_exception_fp_ieee_div_zero 0
		.amdhsa_exception_fp_ieee_overflow 0
		.amdhsa_exception_fp_ieee_underflow 0
		.amdhsa_exception_fp_ieee_inexact 0
		.amdhsa_exception_int_div_zero 0
	.end_amdhsa_kernel
	.text
.Lfunc_end0:
	.size	fft_rtc_fwd_len216_factors_6_6_6_wgs_324_tpt_36_sp_ip_CI_sbcc_twdbase5_3step, .Lfunc_end0-fft_rtc_fwd_len216_factors_6_6_6_wgs_324_tpt_36_sp_ip_CI_sbcc_twdbase5_3step
                                        ; -- End function
	.section	.AMDGPU.csdata,"",@progbits
; Kernel info:
; codeLenInByte = 5104
; NumSgprs: 46
; NumVgprs: 68
; ScratchSize: 0
; MemoryBound: 0
; FloatMode: 240
; IeeeMode: 1
; LDSByteSize: 0 bytes/workgroup (compile time only)
; SGPRBlocks: 5
; VGPRBlocks: 8
; NumSGPRsForWavesPerEU: 46
; NumVGPRsForWavesPerEU: 68
; Occupancy: 12
; WaveLimiterHint : 1
; COMPUTE_PGM_RSRC2:SCRATCH_EN: 0
; COMPUTE_PGM_RSRC2:USER_SGPR: 6
; COMPUTE_PGM_RSRC2:TRAP_HANDLER: 0
; COMPUTE_PGM_RSRC2:TGID_X_EN: 1
; COMPUTE_PGM_RSRC2:TGID_Y_EN: 0
; COMPUTE_PGM_RSRC2:TGID_Z_EN: 0
; COMPUTE_PGM_RSRC2:TIDIG_COMP_CNT: 0
	.text
	.p2alignl 6, 3214868480
	.fill 48, 4, 3214868480
	.type	__hip_cuid_17472221c0c9192b,@object ; @__hip_cuid_17472221c0c9192b
	.section	.bss,"aw",@nobits
	.globl	__hip_cuid_17472221c0c9192b
__hip_cuid_17472221c0c9192b:
	.byte	0                               ; 0x0
	.size	__hip_cuid_17472221c0c9192b, 1

	.ident	"AMD clang version 19.0.0git (https://github.com/RadeonOpenCompute/llvm-project roc-6.4.0 25133 c7fe45cf4b819c5991fe208aaa96edf142730f1d)"
	.section	".note.GNU-stack","",@progbits
	.addrsig
	.addrsig_sym __hip_cuid_17472221c0c9192b
	.amdgpu_metadata
---
amdhsa.kernels:
  - .args:
      - .actual_access:  read_only
        .address_space:  global
        .offset:         0
        .size:           8
        .value_kind:     global_buffer
      - .address_space:  global
        .offset:         8
        .size:           8
        .value_kind:     global_buffer
      - .offset:         16
        .size:           8
        .value_kind:     by_value
      - .actual_access:  read_only
        .address_space:  global
        .offset:         24
        .size:           8
        .value_kind:     global_buffer
      - .actual_access:  read_only
        .address_space:  global
        .offset:         32
        .size:           8
        .value_kind:     global_buffer
      - .offset:         40
        .size:           8
        .value_kind:     by_value
      - .actual_access:  read_only
        .address_space:  global
        .offset:         48
        .size:           8
        .value_kind:     global_buffer
      - .actual_access:  read_only
        .address_space:  global
        .offset:         56
        .size:           8
        .value_kind:     global_buffer
      - .offset:         64
        .size:           4
        .value_kind:     by_value
      - .actual_access:  read_only
        .address_space:  global
        .offset:         72
        .size:           8
        .value_kind:     global_buffer
      - .actual_access:  read_only
        .address_space:  global
        .offset:         80
        .size:           8
        .value_kind:     global_buffer
      - .address_space:  global
        .offset:         88
        .size:           8
        .value_kind:     global_buffer
    .group_segment_fixed_size: 0
    .kernarg_segment_align: 8
    .kernarg_segment_size: 96
    .language:       OpenCL C
    .language_version:
      - 2
      - 0
    .max_flat_workgroup_size: 324
    .name:           fft_rtc_fwd_len216_factors_6_6_6_wgs_324_tpt_36_sp_ip_CI_sbcc_twdbase5_3step
    .private_segment_fixed_size: 0
    .sgpr_count:     46
    .sgpr_spill_count: 0
    .symbol:         fft_rtc_fwd_len216_factors_6_6_6_wgs_324_tpt_36_sp_ip_CI_sbcc_twdbase5_3step.kd
    .uniform_work_group_size: 1
    .uses_dynamic_stack: false
    .vgpr_count:     68
    .vgpr_spill_count: 0
    .wavefront_size: 32
    .workgroup_processor_mode: 1
amdhsa.target:   amdgcn-amd-amdhsa--gfx1030
amdhsa.version:
  - 1
  - 2
...

	.end_amdgpu_metadata
